;; amdgpu-corpus repo=ROCm/rocFFT kind=compiled arch=gfx1030 opt=O3
	.text
	.amdgcn_target "amdgcn-amd-amdhsa--gfx1030"
	.amdhsa_code_object_version 6
	.protected	fft_rtc_fwd_len143_factors_13_11_wgs_182_tpt_13_sp_op_CI_CI_sbrr_dirReg ; -- Begin function fft_rtc_fwd_len143_factors_13_11_wgs_182_tpt_13_sp_op_CI_CI_sbrr_dirReg
	.globl	fft_rtc_fwd_len143_factors_13_11_wgs_182_tpt_13_sp_op_CI_CI_sbrr_dirReg
	.p2align	8
	.type	fft_rtc_fwd_len143_factors_13_11_wgs_182_tpt_13_sp_op_CI_CI_sbrr_dirReg,@function
fft_rtc_fwd_len143_factors_13_11_wgs_182_tpt_13_sp_op_CI_CI_sbrr_dirReg: ; @fft_rtc_fwd_len143_factors_13_11_wgs_182_tpt_13_sp_op_CI_CI_sbrr_dirReg
; %bb.0:
	s_clause 0x1
	s_load_dwordx4 s[16:19], s[4:5], 0x18
	s_load_dwordx4 s[12:15], s[4:5], 0x0
	v_mul_u32_u24_e32 v1, 0x13b2, v0
	v_mov_b32_e32 v5, 0
	v_mov_b32_e32 v32, 0
	v_mov_b32_e32 v33, 0
	s_load_dwordx4 s[8:11], s[4:5], 0x58
	s_waitcnt lgkmcnt(0)
	s_load_dwordx2 s[20:21], s[16:17], 0x0
	s_load_dwordx2 s[2:3], s[18:19], 0x0
	v_lshrrev_b32_e32 v1, 16, v1
	v_cmp_lt_u64_e64 s0, s[14:15], 2
	v_mad_u64_u32 v[7:8], null, s6, 14, v[1:2]
	v_mov_b32_e32 v8, v5
	v_mov_b32_e32 v1, v32
	;; [unrolled: 1-line block ×3, first 2 shown]
	s_and_b32 vcc_lo, exec_lo, s0
	v_mov_b32_e32 v3, v7
	v_mov_b32_e32 v4, v8
	s_cbranch_vccnz .LBB0_8
; %bb.1:
	s_load_dwordx2 s[0:1], s[4:5], 0x10
	v_mov_b32_e32 v32, 0
	v_mov_b32_e32 v33, 0
	s_add_u32 s6, s18, 8
	v_mov_b32_e32 v9, v8
	s_addc_u32 s7, s19, 0
	v_mov_b32_e32 v1, v32
	v_mov_b32_e32 v8, v7
	s_add_u32 s22, s16, 8
	v_mov_b32_e32 v2, v33
	s_addc_u32 s23, s17, 0
	s_mov_b64 s[26:27], 1
	s_waitcnt lgkmcnt(0)
	s_add_u32 s24, s0, 8
	s_addc_u32 s25, s1, 0
.LBB0_2:                                ; =>This Inner Loop Header: Depth=1
	s_load_dwordx2 s[28:29], s[24:25], 0x0
                                        ; implicit-def: $vgpr3_vgpr4
	s_mov_b32 s0, exec_lo
	s_waitcnt lgkmcnt(0)
	v_or_b32_e32 v6, s29, v9
	v_cmpx_ne_u64_e32 0, v[5:6]
	s_xor_b32 s1, exec_lo, s0
	s_cbranch_execz .LBB0_4
; %bb.3:                                ;   in Loop: Header=BB0_2 Depth=1
	v_cvt_f32_u32_e32 v3, s28
	v_cvt_f32_u32_e32 v4, s29
	s_sub_u32 s0, 0, s28
	s_subb_u32 s30, 0, s29
	v_fmac_f32_e32 v3, 0x4f800000, v4
	v_rcp_f32_e32 v3, v3
	v_mul_f32_e32 v3, 0x5f7ffffc, v3
	v_mul_f32_e32 v4, 0x2f800000, v3
	v_trunc_f32_e32 v4, v4
	v_fmac_f32_e32 v3, 0xcf800000, v4
	v_cvt_u32_f32_e32 v4, v4
	v_cvt_u32_f32_e32 v3, v3
	v_mul_lo_u32 v6, s0, v4
	v_mul_hi_u32 v10, s0, v3
	v_mul_lo_u32 v11, s30, v3
	v_add_nc_u32_e32 v6, v10, v6
	v_mul_lo_u32 v10, s0, v3
	v_add_nc_u32_e32 v6, v6, v11
	v_mul_hi_u32 v11, v3, v10
	v_mul_lo_u32 v12, v3, v6
	v_mul_hi_u32 v13, v3, v6
	v_mul_hi_u32 v14, v4, v10
	v_mul_lo_u32 v10, v4, v10
	v_mul_hi_u32 v15, v4, v6
	v_mul_lo_u32 v6, v4, v6
	v_add_co_u32 v11, vcc_lo, v11, v12
	v_add_co_ci_u32_e32 v12, vcc_lo, 0, v13, vcc_lo
	v_add_co_u32 v10, vcc_lo, v11, v10
	v_add_co_ci_u32_e32 v10, vcc_lo, v12, v14, vcc_lo
	v_add_co_ci_u32_e32 v11, vcc_lo, 0, v15, vcc_lo
	v_add_co_u32 v6, vcc_lo, v10, v6
	v_add_co_ci_u32_e32 v10, vcc_lo, 0, v11, vcc_lo
	v_add_co_u32 v3, vcc_lo, v3, v6
	v_add_co_ci_u32_e32 v4, vcc_lo, v4, v10, vcc_lo
	v_mul_hi_u32 v6, s0, v3
	v_mul_lo_u32 v11, s30, v3
	v_mul_lo_u32 v10, s0, v4
	v_add_nc_u32_e32 v6, v6, v10
	v_mul_lo_u32 v10, s0, v3
	v_add_nc_u32_e32 v6, v6, v11
	v_mul_hi_u32 v11, v3, v10
	v_mul_lo_u32 v12, v3, v6
	v_mul_hi_u32 v13, v3, v6
	v_mul_hi_u32 v14, v4, v10
	v_mul_lo_u32 v10, v4, v10
	v_mul_hi_u32 v15, v4, v6
	v_mul_lo_u32 v6, v4, v6
	v_add_co_u32 v11, vcc_lo, v11, v12
	v_add_co_ci_u32_e32 v12, vcc_lo, 0, v13, vcc_lo
	v_add_co_u32 v10, vcc_lo, v11, v10
	v_add_co_ci_u32_e32 v10, vcc_lo, v12, v14, vcc_lo
	v_add_co_ci_u32_e32 v11, vcc_lo, 0, v15, vcc_lo
	v_add_co_u32 v6, vcc_lo, v10, v6
	v_add_co_ci_u32_e32 v10, vcc_lo, 0, v11, vcc_lo
	v_add_co_u32 v6, vcc_lo, v3, v6
	v_add_co_ci_u32_e32 v12, vcc_lo, v4, v10, vcc_lo
	v_mul_hi_u32 v14, v8, v6
	v_mad_u64_u32 v[10:11], null, v9, v6, 0
	v_mad_u64_u32 v[3:4], null, v8, v12, 0
	v_mad_u64_u32 v[12:13], null, v9, v12, 0
	v_add_co_u32 v3, vcc_lo, v14, v3
	v_add_co_ci_u32_e32 v4, vcc_lo, 0, v4, vcc_lo
	v_add_co_u32 v3, vcc_lo, v3, v10
	v_add_co_ci_u32_e32 v3, vcc_lo, v4, v11, vcc_lo
	v_add_co_ci_u32_e32 v4, vcc_lo, 0, v13, vcc_lo
	v_add_co_u32 v6, vcc_lo, v3, v12
	v_add_co_ci_u32_e32 v10, vcc_lo, 0, v4, vcc_lo
	v_mul_lo_u32 v11, s29, v6
	v_mad_u64_u32 v[3:4], null, s28, v6, 0
	v_mul_lo_u32 v12, s28, v10
	v_sub_co_u32 v3, vcc_lo, v8, v3
	v_add3_u32 v4, v4, v12, v11
	v_sub_nc_u32_e32 v11, v9, v4
	v_subrev_co_ci_u32_e64 v11, s0, s29, v11, vcc_lo
	v_add_co_u32 v12, s0, v6, 2
	v_add_co_ci_u32_e64 v13, s0, 0, v10, s0
	v_sub_co_u32 v14, s0, v3, s28
	v_sub_co_ci_u32_e32 v4, vcc_lo, v9, v4, vcc_lo
	v_subrev_co_ci_u32_e64 v11, s0, 0, v11, s0
	v_cmp_le_u32_e32 vcc_lo, s28, v14
	v_cmp_eq_u32_e64 s0, s29, v4
	v_cndmask_b32_e64 v14, 0, -1, vcc_lo
	v_cmp_le_u32_e32 vcc_lo, s29, v11
	v_cndmask_b32_e64 v15, 0, -1, vcc_lo
	v_cmp_le_u32_e32 vcc_lo, s28, v3
	;; [unrolled: 2-line block ×3, first 2 shown]
	v_cndmask_b32_e64 v16, 0, -1, vcc_lo
	v_cmp_eq_u32_e32 vcc_lo, s29, v11
	v_cndmask_b32_e64 v3, v16, v3, s0
	v_cndmask_b32_e32 v11, v15, v14, vcc_lo
	v_add_co_u32 v14, vcc_lo, v6, 1
	v_add_co_ci_u32_e32 v15, vcc_lo, 0, v10, vcc_lo
	v_cmp_ne_u32_e32 vcc_lo, 0, v11
	v_cndmask_b32_e32 v4, v15, v13, vcc_lo
	v_cndmask_b32_e32 v11, v14, v12, vcc_lo
	v_cmp_ne_u32_e32 vcc_lo, 0, v3
	v_cndmask_b32_e32 v4, v10, v4, vcc_lo
	v_cndmask_b32_e32 v3, v6, v11, vcc_lo
.LBB0_4:                                ;   in Loop: Header=BB0_2 Depth=1
	s_andn2_saveexec_b32 s0, s1
	s_cbranch_execz .LBB0_6
; %bb.5:                                ;   in Loop: Header=BB0_2 Depth=1
	v_cvt_f32_u32_e32 v3, s28
	s_sub_i32 s1, 0, s28
	v_rcp_iflag_f32_e32 v3, v3
	v_mul_f32_e32 v3, 0x4f7ffffe, v3
	v_cvt_u32_f32_e32 v3, v3
	v_mul_lo_u32 v4, s1, v3
	v_mul_hi_u32 v4, v3, v4
	v_add_nc_u32_e32 v3, v3, v4
	v_mul_hi_u32 v3, v8, v3
	v_mul_lo_u32 v4, v3, s28
	v_add_nc_u32_e32 v6, 1, v3
	v_sub_nc_u32_e32 v4, v8, v4
	v_subrev_nc_u32_e32 v10, s28, v4
	v_cmp_le_u32_e32 vcc_lo, s28, v4
	v_cndmask_b32_e32 v4, v4, v10, vcc_lo
	v_cndmask_b32_e32 v3, v3, v6, vcc_lo
	v_cmp_le_u32_e32 vcc_lo, s28, v4
	v_add_nc_u32_e32 v6, 1, v3
	v_mov_b32_e32 v4, v5
	v_cndmask_b32_e32 v3, v3, v6, vcc_lo
.LBB0_6:                                ;   in Loop: Header=BB0_2 Depth=1
	s_or_b32 exec_lo, exec_lo, s0
	v_mul_lo_u32 v6, v4, s28
	v_mul_lo_u32 v12, v3, s29
	s_load_dwordx2 s[0:1], s[22:23], 0x0
	v_mad_u64_u32 v[10:11], null, v3, s28, 0
	s_load_dwordx2 s[28:29], s[6:7], 0x0
	s_add_u32 s26, s26, 1
	s_addc_u32 s27, s27, 0
	s_add_u32 s6, s6, 8
	s_addc_u32 s7, s7, 0
	s_add_u32 s22, s22, 8
	v_add3_u32 v6, v11, v12, v6
	v_sub_co_u32 v8, vcc_lo, v8, v10
	s_addc_u32 s23, s23, 0
	s_add_u32 s24, s24, 8
	v_sub_co_ci_u32_e32 v6, vcc_lo, v9, v6, vcc_lo
	s_addc_u32 s25, s25, 0
	s_waitcnt lgkmcnt(0)
	v_mul_lo_u32 v9, s0, v6
	v_mul_lo_u32 v10, s1, v8
	v_mad_u64_u32 v[32:33], null, s0, v8, v[32:33]
	v_mul_lo_u32 v6, s28, v6
	v_mul_lo_u32 v11, s29, v8
	v_mad_u64_u32 v[1:2], null, s28, v8, v[1:2]
	v_cmp_ge_u64_e64 s0, s[26:27], s[14:15]
	v_add3_u32 v33, v10, v33, v9
	v_add3_u32 v2, v11, v2, v6
	s_and_b32 vcc_lo, exec_lo, s0
	s_cbranch_vccnz .LBB0_8
; %bb.7:                                ;   in Loop: Header=BB0_2 Depth=1
	v_mov_b32_e32 v9, v4
	v_mov_b32_e32 v8, v3
	s_branch .LBB0_2
.LBB0_8:
	s_load_dwordx2 s[0:1], s[4:5], 0x28
	s_lshl_b64 s[6:7], s[14:15], 3
	v_mul_hi_u32 v5, 0x13b13b14, v0
	s_add_u32 s4, s18, s6
	s_addc_u32 s5, s19, s7
	v_mov_b32_e32 v6, 0
	s_load_dwordx2 s[4:5], s[4:5], 0x0
	v_mov_b32_e32 v34, 0
                                        ; implicit-def: $vgpr13
                                        ; implicit-def: $vgpr11
                                        ; implicit-def: $vgpr9
                                        ; implicit-def: $vgpr29
                                        ; implicit-def: $vgpr25
                                        ; implicit-def: $vgpr21
                                        ; implicit-def: $vgpr15
                                        ; implicit-def: $vgpr17
                                        ; implicit-def: $vgpr23
                                        ; implicit-def: $vgpr27
                                        ; implicit-def: $vgpr31
                                        ; implicit-def: $vgpr19
	v_mul_u32_u24_e32 v5, 13, v5
	v_sub_nc_u32_e32 v0, v0, v5
	v_mov_b32_e32 v5, 0
	s_waitcnt lgkmcnt(0)
	v_cmp_gt_u64_e32 vcc_lo, s[0:1], v[3:4]
	s_and_saveexec_b32 s1, vcc_lo
	s_cbranch_execz .LBB0_12
; %bb.9:
	v_mov_b32_e32 v5, 0
	v_mov_b32_e32 v6, 0
	s_mov_b32 s14, exec_lo
                                        ; implicit-def: $vgpr18
                                        ; implicit-def: $vgpr30
                                        ; implicit-def: $vgpr26
                                        ; implicit-def: $vgpr22
                                        ; implicit-def: $vgpr16
                                        ; implicit-def: $vgpr14
                                        ; implicit-def: $vgpr20
                                        ; implicit-def: $vgpr24
                                        ; implicit-def: $vgpr28
                                        ; implicit-def: $vgpr8
                                        ; implicit-def: $vgpr10
                                        ; implicit-def: $vgpr12
	v_cmpx_gt_u32_e32 11, v0
	s_cbranch_execz .LBB0_11
; %bb.10:
	s_add_u32 s6, s16, s6
	s_addc_u32 s7, s17, s7
	v_add_nc_u32_e32 v21, 11, v0
	s_load_dwordx2 s[6:7], s[6:7], 0x0
	v_add_nc_u32_e32 v23, 22, v0
	v_mad_u64_u32 v[5:6], null, s20, v0, 0
	v_mad_u64_u32 v[10:11], null, s20, v21, 0
	v_add_nc_u32_e32 v24, 33, v0
	v_mad_u64_u32 v[12:13], null, s20, v23, 0
	v_add_nc_u32_e32 v25, 44, v0
	v_mad_u64_u32 v[18:19], null, s21, v0, v[6:7]
	v_mad_u64_u32 v[14:15], null, s20, v24, 0
	v_mov_b32_e32 v6, v11
	v_mov_b32_e32 v11, v13
	v_lshlrev_b64 v[8:9], 3, v[32:33]
	v_mad_u64_u32 v[19:20], null, s20, v25, 0
	v_add_nc_u32_e32 v29, 0x6e, v0
	s_waitcnt lgkmcnt(0)
	v_mul_lo_u32 v22, s7, v3
	v_mul_lo_u32 v26, s6, v4
	v_mad_u64_u32 v[16:17], null, s6, v3, 0
	v_mov_b32_e32 v13, v15
	v_add_nc_u32_e32 v28, 0x63, v0
	v_mad_u64_u32 v[30:31], null, s20, v29, 0
	v_add_nc_u32_e32 v41, 0x79, v0
	v_add_nc_u32_e32 v42, 0x84, v0
	v_add3_u32 v17, v17, v26, v22
	v_mad_u64_u32 v[21:22], null, s21, v21, v[6:7]
	v_mad_u64_u32 v[22:23], null, s21, v23, v[11:12]
	v_lshlrev_b64 v[15:16], 3, v[16:17]
	v_mov_b32_e32 v6, v18
	v_mad_u64_u32 v[17:18], null, s21, v24, v[13:14]
	v_mov_b32_e32 v11, v21
	v_add_nc_u32_e32 v18, 55, v0
	v_add_co_u32 v15, s0, s8, v15
	v_add_co_ci_u32_e64 v16, s0, s9, v16, s0
	v_mov_b32_e32 v13, v22
	v_lshlrev_b64 v[5:6], 3, v[5:6]
	v_add_co_u32 v39, s0, v15, v8
	v_add_co_ci_u32_e64 v40, s0, v16, v9, s0
	v_lshlrev_b64 v[8:9], 3, v[10:11]
	v_lshlrev_b64 v[11:12], 3, v[12:13]
	v_mov_b32_e32 v15, v17
	v_mov_b32_e32 v10, v20
	v_add_co_u32 v5, s0, v39, v5
	v_add_co_ci_u32_e64 v6, s0, v40, v6, s0
	v_add_co_u32 v8, s0, v39, v8
	v_lshlrev_b64 v[13:14], 3, v[14:15]
	v_mad_u64_u32 v[15:16], null, s21, v25, v[10:11]
	v_add_co_ci_u32_e64 v9, s0, v40, v9, s0
	v_mad_u64_u32 v[16:17], null, s20, v18, 0
	v_add_co_u32 v10, s0, v39, v11
	v_add_nc_u32_e32 v23, 0x42, v0
	v_add_co_ci_u32_e64 v11, s0, v40, v12, s0
	v_add_co_u32 v21, s0, v39, v13
	v_add_co_ci_u32_e64 v22, s0, v40, v14, s0
	v_mov_b32_e32 v20, v15
	v_mad_u64_u32 v[14:15], null, s20, v23, 0
	v_mov_b32_e32 v12, v17
	v_add_nc_u32_e32 v24, 0x4d, v0
	v_add_nc_u32_e32 v25, 0x58, v0
	v_mad_u64_u32 v[26:27], null, s20, v28, 0
	v_mad_u64_u32 v[17:18], null, s21, v18, v[12:13]
	s_clause 0x3
	global_load_dwordx2 v[5:6], v[5:6], off
	global_load_dwordx2 v[12:13], v[8:9], off
	;; [unrolled: 1-line block ×4, first 2 shown]
	v_lshlrev_b64 v[18:19], 3, v[19:20]
	v_mad_u64_u32 v[20:21], null, s20, v24, 0
	v_mad_u64_u32 v[22:23], null, s21, v23, v[15:16]
	v_lshlrev_b64 v[16:17], 3, v[16:17]
	v_add_co_u32 v18, s0, v39, v18
	v_add_co_ci_u32_e64 v19, s0, v40, v19, s0
	v_mad_u64_u32 v[34:35], null, s20, v41, 0
	v_mov_b32_e32 v15, v22
	v_mad_u64_u32 v[21:22], null, s21, v24, v[21:22]
	v_mad_u64_u32 v[22:23], null, s20, v25, 0
	v_lshlrev_b64 v[14:15], 3, v[14:15]
	v_add_co_u32 v16, s0, v39, v16
	v_add_co_ci_u32_e64 v17, s0, v40, v17, s0
	v_lshlrev_b64 v[20:21], 3, v[20:21]
	v_add_co_u32 v14, s0, v39, v14
	v_add_co_ci_u32_e64 v15, s0, v40, v15, s0
	v_mad_u64_u32 v[23:24], null, s21, v25, v[23:24]
	v_add_co_u32 v32, s0, v39, v20
	v_mov_b32_e32 v20, v31
	v_mov_b32_e32 v24, v27
	v_add_co_ci_u32_e64 v33, s0, v40, v21, s0
	v_mad_u64_u32 v[36:37], null, s21, v29, v[20:21]
	v_mad_u64_u32 v[37:38], null, s20, v42, 0
	;; [unrolled: 1-line block ×3, first 2 shown]
	s_clause 0x3
	global_load_dwordx2 v[28:29], v[18:19], off
	global_load_dwordx2 v[24:25], v[16:17], off
	global_load_dwordx2 v[20:21], v[14:15], off
	global_load_dwordx2 v[18:19], v[32:33], off
	v_lshlrev_b64 v[15:16], 3, v[22:23]
	v_mov_b32_e32 v14, v35
	v_mov_b32_e32 v31, v36
	v_lshlrev_b64 v[26:27], 3, v[26:27]
	v_mad_u64_u32 v[22:23], null, s21, v41, v[14:15]
	v_mov_b32_e32 v14, v38
	v_add_co_u32 v15, s0, v39, v15
	v_lshlrev_b64 v[30:31], 3, v[30:31]
	v_add_co_ci_u32_e64 v16, s0, v40, v16, s0
	v_mad_u64_u32 v[32:33], null, s21, v42, v[14:15]
	v_mov_b32_e32 v35, v22
	v_add_co_u32 v22, s0, v39, v26
	v_add_co_ci_u32_e64 v23, s0, v40, v27, s0
	v_lshlrev_b64 v[26:27], 3, v[34:35]
	v_mov_b32_e32 v38, v32
	v_add_co_u32 v32, s0, v39, v30
	v_add_co_ci_u32_e64 v33, s0, v40, v31, s0
	v_lshlrev_b64 v[30:31], 3, v[37:38]
	v_add_co_u32 v34, s0, v39, v26
	v_add_co_ci_u32_e64 v35, s0, v40, v27, s0
	v_add_co_u32 v36, s0, v39, v30
	v_add_co_ci_u32_e64 v37, s0, v40, v31, s0
	s_clause 0x4
	global_load_dwordx2 v[30:31], v[15:16], off
	global_load_dwordx2 v[26:27], v[22:23], off
	;; [unrolled: 1-line block ×5, first 2 shown]
.LBB0_11:
	s_or_b32 exec_lo, exec_lo, s14
	v_mov_b32_e32 v34, v0
.LBB0_12:
	s_or_b32 exec_lo, exec_lo, s1
	v_lshrrev_b32_e32 v32, 1, v7
	s_mov_b32 s1, exec_lo
	v_mul_hi_u32 v32, 0x92492493, v32
	v_lshrrev_b32_e32 v32, 2, v32
	v_mul_lo_u32 v32, v32, 14
	v_sub_nc_u32_e32 v7, v7, v32
	v_mul_u32_u24_e32 v7, 0x8f, v7
	v_lshlrev_b32_e32 v32, 3, v7
	v_cmpx_gt_u32_e32 11, v0
	s_cbranch_execz .LBB0_14
; %bb.13:
	s_waitcnt vmcnt(0)
	v_sub_f32_e32 v56, v12, v14
	v_add_f32_e32 v38, v13, v15
	v_sub_f32_e32 v55, v10, v16
	v_add_f32_e32 v37, v11, v17
	v_sub_f32_e32 v54, v8, v22
	v_mul_f32_e32 v47, 0xbe750f2a, v56
	v_add_f32_e32 v57, v12, v14
	v_mul_f32_e32 v44, 0x3eedf032, v55
	v_add_f32_e32 v36, v9, v23
	v_sub_f32_e32 v52, v28, v26
	v_fmamk_f32 v7, v38, 0xbf788fa5, v47
	v_mul_f32_e32 v45, 0xbf29c268, v54
	v_fmamk_f32 v40, v37, 0x3f62ad3f, v44
	v_sub_f32_e32 v39, v13, v15
	v_add_f32_e32 v58, v10, v16
	v_add_f32_e32 v7, v6, v7
	v_mul_f32_e32 v49, 0xbf788fa5, v57
	v_add_f32_e32 v33, v29, v27
	v_sub_f32_e32 v53, v24, v30
	v_mul_f32_e32 v46, 0x3f52af12, v52
	v_fmamk_f32 v41, v36, 0xbf3f9e67, v45
	v_add_f32_e32 v7, v7, v40
	v_sub_f32_e32 v40, v11, v17
	v_mul_f32_e32 v48, 0x3f62ad3f, v58
	v_fmamk_f32 v50, v39, 0x3e750f2a, v49
	v_add_f32_e32 v35, v25, v31
	v_mul_f32_e32 v43, 0xbf6f5d39, v53
	v_fmamk_f32 v42, v33, 0x3f116cb1, v46
	v_add_f32_e32 v7, v7, v41
	v_fmamk_f32 v61, v40, 0xbeedf032, v48
	v_add_f32_e32 v62, v5, v50
	;; [unrolled: 2-line block ×3, first 2 shown]
	v_add_f32_e32 v7, v7, v42
	v_add_f32_e32 v13, v6, v13
	;; [unrolled: 1-line block ×4, first 2 shown]
	v_mul_f32_e32 v50, 0xbf3f9e67, v59
	v_add_f32_e32 v7, v7, v41
	v_sub_f32_e32 v41, v9, v23
	v_add_f32_e32 v60, v28, v26
	v_add_f32_e32 v13, v13, v11
	;; [unrolled: 1-line block ×3, first 2 shown]
	v_sub_f32_e32 v51, v20, v18
	v_fmamk_f32 v63, v41, 0x3f29c268, v50
	v_mul_f32_e32 v64, 0x3f116cb1, v60
	v_sub_f32_e32 v12, v29, v27
	v_add_f32_e32 v62, v24, v30
	v_add_f32_e32 v9, v13, v9
	;; [unrolled: 1-line block ×3, first 2 shown]
	v_mul_f32_e32 v42, 0x3f7e222b, v51
	v_add_f32_e32 v11, v21, v19
	v_add_f32_e32 v61, v61, v63
	v_fmamk_f32 v63, v12, 0xbf52af12, v64
	v_mul_f32_e32 v65, 0xbeb58ec6, v62
	v_sub_f32_e32 v13, v25, v31
	v_add_f32_e32 v9, v9, v29
	v_add_f32_e32 v67, v8, v28
	;; [unrolled: 1-line block ×3, first 2 shown]
	v_fmamk_f32 v61, v11, 0x3df6dbef, v42
	v_fmamk_f32 v29, v13, 0x3f6f5d39, v65
	v_add_f32_e32 v63, v20, v18
	v_mul_f32_e32 v66, 0xbf29c268, v56
	v_add_f32_e32 v9, v9, v25
	v_add_f32_e32 v24, v67, v24
	;; [unrolled: 1-line block ×4, first 2 shown]
	v_mul_f32_e32 v29, 0x3df6dbef, v63
	v_fmamk_f32 v10, v38, 0xbf3f9e67, v66
	v_mul_f32_e32 v61, 0x3f7e222b, v55
	v_sub_f32_e32 v28, v21, v19
	v_add_f32_e32 v9, v9, v21
	v_add_f32_e32 v20, v24, v20
	;; [unrolled: 1-line block ×3, first 2 shown]
	v_fmamk_f32 v25, v37, 0x3df6dbef, v61
	v_mul_f32_e32 v67, 0xbf52af12, v54
	v_fmamk_f32 v68, v28, 0xbf7e222b, v29
	v_mul_f32_e32 v24, 0xbf3f9e67, v57
	v_add_f32_e32 v9, v9, v19
	v_add_f32_e32 v18, v20, v18
	;; [unrolled: 1-line block ×3, first 2 shown]
	v_fmamk_f32 v21, v36, 0x3f116cb1, v67
	v_add_f32_e32 v7, v7, v68
	v_mul_f32_e32 v25, 0x3e750f2a, v52
	v_fmamk_f32 v19, v39, 0x3f29c268, v24
	v_mul_f32_e32 v68, 0x3df6dbef, v58
	v_add_f32_e32 v9, v31, v9
	v_add_f32_e32 v18, v30, v18
	;; [unrolled: 1-line block ×3, first 2 shown]
	v_fmamk_f32 v20, v33, 0xbf788fa5, v25
	v_add_f32_e32 v19, v5, v19
	v_fmamk_f32 v21, v40, 0xbf7e222b, v68
	v_add_f32_e32 v9, v27, v9
	v_add_f32_e32 v18, v26, v18
	v_mul_f32_e32 v26, 0x3f116cb1, v59
	v_add_f32_e32 v20, v10, v20
	v_add_f32_e32 v10, v19, v21
	;; [unrolled: 1-line block ×4, first 2 shown]
	v_fmamk_f32 v19, v41, 0x3f52af12, v26
	v_mul_f32_e32 v27, 0xbf788fa5, v60
	v_mul_f32_e32 v30, 0x3eedf032, v53
	v_add_f32_e32 v9, v17, v9
	v_add_f32_e32 v16, v16, v18
	v_add_f32_e32 v17, v10, v19
	v_fmamk_f32 v18, v12, 0xbe750f2a, v27
	v_mul_f32_e32 v31, 0x3f62ad3f, v62
	v_mul_f32_e32 v70, 0xbf6f5d39, v56
	v_add_f32_e32 v10, v15, v9
	v_add_f32_e32 v9, v14, v16
	v_fmamk_f32 v14, v35, 0x3f62ad3f, v30
	v_add_f32_e32 v15, v17, v18
	v_fmamk_f32 v16, v13, 0xbeedf032, v31
	v_fmamk_f32 v17, v38, 0xbeb58ec6, v70
	v_mul_f32_e32 v72, 0x3f29c268, v55
	v_mul_f32_e32 v73, 0xbeb58ec6, v57
	v_add_f32_e32 v14, v20, v14
	v_add_f32_e32 v16, v15, v16
	;; [unrolled: 1-line block ×3, first 2 shown]
	v_fmamk_f32 v17, v37, 0xbf3f9e67, v72
	v_mul_f32_e32 v74, 0x3eedf032, v54
	v_fmamk_f32 v20, v39, 0x3f6f5d39, v73
	v_mul_f32_e32 v75, 0xbf3f9e67, v58
	v_mul_f32_e32 v69, 0xbf6f5d39, v51
	v_add_f32_e32 v15, v15, v17
	v_fmamk_f32 v17, v36, 0x3f62ad3f, v74
	v_mul_f32_e32 v76, 0xbf7e222b, v52
	v_add_f32_e32 v20, v5, v20
	v_fmamk_f32 v21, v40, 0xbf29c268, v75
	v_mul_f32_e32 v77, 0x3f62ad3f, v59
	v_mul_f32_e32 v71, 0xbeb58ec6, v63
	v_fmamk_f32 v18, v11, 0xbeb58ec6, v69
	v_add_f32_e32 v17, v15, v17
	v_fmamk_f32 v22, v33, 0x3df6dbef, v76
	v_mul_f32_e32 v78, 0x3e750f2a, v53
	v_add_f32_e32 v20, v20, v21
	v_fmamk_f32 v21, v41, 0xbeedf032, v77
	v_mul_f32_e32 v79, 0x3df6dbef, v60
	v_fmamk_f32 v19, v28, 0x3f6f5d39, v71
	v_add_f32_e32 v15, v14, v18
	v_add_f32_e32 v14, v17, v22
	v_fmamk_f32 v17, v35, 0xbf788fa5, v78
	v_add_f32_e32 v18, v20, v21
	v_fmamk_f32 v20, v12, 0x3f7e222b, v79
	v_mul_f32_e32 v80, 0xbf788fa5, v62
	v_mul_f32_e32 v82, 0xbf7e222b, v56
	;; [unrolled: 1-line block ×3, first 2 shown]
	v_add_f32_e32 v17, v14, v17
	v_add_f32_e32 v18, v18, v20
	v_fmamk_f32 v20, v13, 0xbe750f2a, v80
	v_add_f32_e32 v14, v16, v19
	v_fmamk_f32 v16, v38, 0x3df6dbef, v82
	v_mul_f32_e32 v83, 0xbe750f2a, v55
	v_mul_f32_e32 v84, 0x3df6dbef, v57
	v_fmamk_f32 v21, v11, 0x3f116cb1, v81
	v_add_f32_e32 v18, v18, v20
	v_add_f32_e32 v16, v6, v16
	v_fmamk_f32 v19, v37, 0xbf788fa5, v83
	v_mul_f32_e32 v85, 0x3f6f5d39, v54
	v_fmamk_f32 v20, v39, 0x3f7e222b, v84
	v_mul_f32_e32 v87, 0xbf788fa5, v58
	v_add_f32_e32 v17, v17, v21
	v_add_f32_e32 v16, v16, v19
	v_fmamk_f32 v19, v36, 0xbeb58ec6, v85
	v_mul_f32_e32 v88, 0x3eedf032, v52
	v_add_f32_e32 v20, v5, v20
	v_fmamk_f32 v21, v40, 0x3e750f2a, v87
	v_mul_f32_e32 v89, 0xbeb58ec6, v59
	v_mul_f32_e32 v86, 0x3f116cb1, v63
	v_add_f32_e32 v16, v16, v19
	v_fmamk_f32 v19, v33, 0x3f62ad3f, v88
	v_mul_f32_e32 v90, 0xbf52af12, v53
	v_add_f32_e32 v20, v20, v21
	v_fmamk_f32 v21, v41, 0xbf6f5d39, v89
	v_mul_f32_e32 v91, 0x3f62ad3f, v60
	v_fmamk_f32 v22, v28, 0xbf52af12, v86
	v_add_f32_e32 v16, v16, v19
	v_fmamk_f32 v19, v35, 0x3f116cb1, v90
	v_add_f32_e32 v20, v20, v21
	v_fmamk_f32 v21, v12, 0xbeedf032, v91
	v_mul_f32_e32 v92, 0x3f116cb1, v62
	v_mul_f32_e32 v94, 0xbf52af12, v56
	;; [unrolled: 1-line block ×3, first 2 shown]
	v_add_f32_e32 v19, v16, v19
	v_add_f32_e32 v20, v20, v21
	v_fmamk_f32 v21, v13, 0x3f52af12, v92
	v_add_f32_e32 v16, v18, v22
	v_fmamk_f32 v18, v38, 0x3f116cb1, v94
	v_mul_f32_e32 v95, 0xbf6f5d39, v55
	v_mul_f32_e32 v96, 0x3f116cb1, v57
	v_fmamk_f32 v23, v11, 0xbf3f9e67, v93
	v_add_f32_e32 v20, v20, v21
	v_add_f32_e32 v18, v6, v18
	v_fmamk_f32 v21, v37, 0xbeb58ec6, v95
	v_mul_f32_e32 v97, 0xbe750f2a, v54
	v_fmamk_f32 v22, v39, 0x3f52af12, v96
	v_mul_f32_e32 v99, 0xbeb58ec6, v58
	v_add_f32_e32 v19, v19, v23
	v_add_f32_e32 v18, v18, v21
	v_fmamk_f32 v21, v36, 0xbf788fa5, v97
	v_mul_f32_e32 v100, 0x3f29c268, v52
	v_add_f32_e32 v22, v5, v22
	v_fmamk_f32 v23, v40, 0x3f6f5d39, v99
	v_mul_f32_e32 v101, 0xbf788fa5, v59
	v_mul_f32_e32 v98, 0xbf3f9e67, v63
	v_add_f32_e32 v18, v18, v21
	v_fmamk_f32 v21, v33, 0xbf3f9e67, v100
	v_mul_f32_e32 v102, 0x3f7e222b, v53
	v_add_f32_e32 v22, v22, v23
	v_fmamk_f32 v23, v41, 0x3e750f2a, v101
	v_mul_f32_e32 v103, 0xbf3f9e67, v60
	v_fmamk_f32 v104, v28, 0x3f29c268, v98
	v_add_f32_e32 v18, v18, v21
	v_fmamk_f32 v21, v35, 0x3df6dbef, v102
	v_add_f32_e32 v22, v22, v23
	v_fmamk_f32 v23, v12, 0xbf29c268, v103
	v_mul_f32_e32 v105, 0x3df6dbef, v62
	v_mul_f32_e32 v56, 0xbeedf032, v56
	;; [unrolled: 1-line block ×3, first 2 shown]
	v_add_f32_e32 v21, v18, v21
	v_add_f32_e32 v22, v22, v23
	v_fmamk_f32 v23, v13, 0xbf7e222b, v105
	v_add_f32_e32 v18, v20, v104
	v_fmamk_f32 v20, v38, 0x3f62ad3f, v56
	v_mul_f32_e32 v55, 0xbf52af12, v55
	v_fmamk_f32 v107, v11, 0x3f62ad3f, v106
	v_add_f32_e32 v22, v22, v23
	v_mul_f32_e32 v57, 0x3f62ad3f, v57
	v_add_f32_e32 v20, v6, v20
	v_fmamk_f32 v23, v37, 0x3f116cb1, v55
	v_mul_f32_e32 v54, 0xbf7e222b, v54
	v_add_f32_e32 v21, v21, v107
	v_fmamk_f32 v107, v39, 0x3eedf032, v57
	;; [unrolled: 3-line block ×3, first 2 shown]
	v_mul_f32_e32 v52, 0xbf6f5d39, v52
	v_mul_f32_e32 v104, 0x3f62ad3f, v63
	v_add_f32_e32 v107, v5, v107
	v_fmamk_f32 v108, v40, 0x3f52af12, v58
	v_mul_f32_e32 v59, 0x3df6dbef, v59
	v_add_f32_e32 v20, v20, v23
	v_fmamk_f32 v23, v33, 0xbeb58ec6, v52
	;; [unrolled: 3-line block ×3, first 2 shown]
	v_mul_f32_e32 v60, 0xbeb58ec6, v60
	v_fmamk_f32 v109, v28, 0xbeedf032, v104
	v_add_f32_e32 v23, v20, v23
	v_fmamk_f32 v110, v35, 0xbf3f9e67, v53
	v_add_f32_e32 v107, v107, v108
	;; [unrolled: 2-line block ×3, first 2 shown]
	v_mul_f32_e32 v62, 0xbf3f9e67, v62
	v_add_f32_e32 v22, v23, v110
	v_fma_f32 v23, 0xbf788fa5, v38, -v47
	v_fmac_f32_e32 v49, 0xbe750f2a, v39
	v_add_f32_e32 v47, v107, v108
	v_fmamk_f32 v107, v13, 0x3f29c268, v62
	v_mul_f32_e32 v51, 0xbe750f2a, v51
	v_add_f32_e32 v23, v6, v23
	v_fma_f32 v44, 0x3f62ad3f, v37, -v44
	v_add_f32_e32 v49, v5, v49
	v_fmac_f32_e32 v48, 0x3eedf032, v40
	v_add_f32_e32 v47, v47, v107
	v_fmamk_f32 v107, v11, 0xbf788fa5, v51
	v_add_f32_e32 v44, v23, v44
	v_fma_f32 v45, 0xbf3f9e67, v36, -v45
	v_add_f32_e32 v48, v49, v48
	v_fmac_f32_e32 v50, 0xbf29c268, v41
	v_mul_f32_e32 v49, 0xbf788fa5, v63
	v_add_f32_e32 v23, v22, v107
	v_add_f32_e32 v22, v44, v45
	v_fma_f32 v44, 0x3f116cb1, v33, -v46
	v_add_f32_e32 v45, v48, v50
	v_fmac_f32_e32 v64, 0x3f52af12, v12
	v_fma_f32 v48, 0xbf3f9e67, v38, -v66
	v_fmamk_f32 v46, v28, 0x3e750f2a, v49
	v_add_f32_e32 v44, v22, v44
	v_fma_f32 v43, 0xbeb58ec6, v35, -v43
	v_add_f32_e32 v45, v45, v64
	v_fmac_f32_e32 v65, 0xbf6f5d39, v13
	v_add_f32_e32 v48, v6, v48
	v_fma_f32 v50, 0x3df6dbef, v37, -v61
	v_fmac_f32_e32 v24, 0xbf29c268, v39
	v_add_f32_e32 v22, v47, v46
	v_add_f32_e32 v43, v44, v43
	;; [unrolled: 1-line block ×4, first 2 shown]
	v_fma_f32 v46, 0x3f116cb1, v36, -v67
	v_fma_f32 v42, 0x3df6dbef, v11, -v42
	v_fmac_f32_e32 v29, 0x3f7e222b, v28
	v_add_f32_e32 v47, v5, v24
	v_fmac_f32_e32 v68, 0x3f7e222b, v40
	v_add_f32_e32 v45, v45, v46
	v_fma_f32 v46, 0xbf788fa5, v33, -v25
	v_add_f32_e32 v25, v43, v42
	v_add_f32_e32 v24, v44, v29
	v_add_f32_e32 v29, v47, v68
	v_fmac_f32_e32 v26, 0xbf52af12, v41
	v_fma_f32 v43, 0xbeb58ec6, v38, -v70
	v_fmac_f32_e32 v73, 0xbf6f5d39, v39
	v_fmac_f32_e32 v27, 0x3e750f2a, v12
	;; [unrolled: 1-line block ×3, first 2 shown]
	v_add_f32_e32 v26, v29, v26
	v_add_f32_e32 v29, v6, v43
	v_fma_f32 v43, 0xbf3f9e67, v37, -v72
	v_add_f32_e32 v44, v5, v73
	v_fmac_f32_e32 v31, 0x3eedf032, v13
	v_add_f32_e32 v26, v26, v27
	v_fmac_f32_e32 v77, 0x3eedf032, v41
	v_add_f32_e32 v27, v29, v43
	v_fma_f32 v29, 0x3f62ad3f, v36, -v74
	v_add_f32_e32 v43, v44, v75
	v_add_f32_e32 v42, v45, v46
	v_fma_f32 v30, 0x3f62ad3f, v35, -v30
	v_add_f32_e32 v26, v26, v31
	v_add_f32_e32 v27, v27, v29
	v_fma_f32 v29, 0x3df6dbef, v33, -v76
	v_add_f32_e32 v31, v43, v77
	v_fmac_f32_e32 v79, 0xbf7e222b, v12
	v_add_f32_e32 v30, v42, v30
	v_fma_f32 v42, 0xbeb58ec6, v11, -v69
	v_add_f32_e32 v29, v27, v29
	v_fma_f32 v43, 0xbf788fa5, v35, -v78
	v_add_f32_e32 v31, v31, v79
	v_fmac_f32_e32 v80, 0x3e750f2a, v13
	v_add_f32_e32 v27, v30, v42
	v_fma_f32 v30, 0x3df6dbef, v38, -v82
	v_add_f32_e32 v29, v29, v43
	v_fma_f32 v42, 0x3f116cb1, v11, -v81
	v_add_f32_e32 v31, v31, v80
	;; [unrolled: 6-line block ×3, first 2 shown]
	v_fma_f32 v31, 0x3f116cb1, v38, -v94
	v_fmac_f32_e32 v84, 0xbf7e222b, v39
	v_fmac_f32_e32 v96, 0xbf52af12, v39
	v_add_f32_e32 v43, v43, v44
	v_fma_f32 v44, 0xbeb58ec6, v36, -v85
	v_add_f32_e32 v31, v6, v31
	v_fma_f32 v38, 0x3f62ad3f, v38, -v56
	v_fmac_f32_e32 v57, 0xbeedf032, v39
	v_add_f32_e32 v42, v5, v84
	v_fmac_f32_e32 v87, 0xbe750f2a, v40
	v_add_f32_e32 v31, v31, v45
	v_fma_f32 v45, 0xbf788fa5, v36, -v97
	v_add_f32_e32 v43, v43, v44
	v_fma_f32 v44, 0x3f62ad3f, v33, -v88
	v_fmac_f32_e32 v99, 0xbf6f5d39, v40
	v_add_f32_e32 v6, v6, v38
	v_add_f32_e32 v31, v31, v45
	v_fma_f32 v45, 0xbf3f9e67, v33, -v100
	v_fma_f32 v37, 0x3f116cb1, v37, -v55
	v_fmac_f32_e32 v58, 0xbf52af12, v40
	v_add_f32_e32 v42, v42, v87
	v_fmac_f32_e32 v89, 0x3f6f5d39, v41
	v_add_f32_e32 v31, v31, v45
	v_add_f32_e32 v45, v5, v96
	;; [unrolled: 1-line block ×4, first 2 shown]
	v_fma_f32 v44, 0x3f116cb1, v35, -v90
	v_fmac_f32_e32 v101, 0xbe750f2a, v41
	v_add_f32_e32 v39, v45, v99
	v_add_f32_e32 v6, v6, v37
	v_fma_f32 v36, 0x3df6dbef, v36, -v54
	v_add_f32_e32 v5, v5, v58
	v_fmac_f32_e32 v59, 0xbf7e222b, v41
	v_add_f32_e32 v42, v42, v89
	v_fmac_f32_e32 v91, 0x3eedf032, v12
	v_add_f32_e32 v43, v43, v44
	v_fma_f32 v44, 0xbf3f9e67, v11, -v93
	v_add_f32_e32 v38, v39, v101
	v_fmac_f32_e32 v103, 0x3f29c268, v12
	v_add_f32_e32 v6, v6, v36
	v_fma_f32 v33, 0xbeb58ec6, v33, -v52
	v_add_f32_e32 v5, v5, v59
	v_fmac_f32_e32 v60, 0xbf6f5d39, v12
	v_add_f32_e32 v42, v42, v91
	v_fmac_f32_e32 v92, 0xbf52af12, v13
	v_add_f32_e32 v43, v43, v44
	v_fma_f32 v44, 0x3df6dbef, v35, -v102
	v_add_f32_e32 v37, v38, v103
	v_fmac_f32_e32 v105, 0x3f7e222b, v13
	v_add_f32_e32 v6, v6, v33
	v_fma_f32 v33, 0xbf3f9e67, v35, -v53
	v_add_f32_e32 v5, v5, v60
	v_fmac_f32_e32 v62, 0xbf29c268, v13
	v_mul_u32_u24_e32 v13, 0x68, v0
	v_fmac_f32_e32 v71, 0xbf6f5d39, v28
	v_add_f32_e32 v42, v42, v92
	v_fmac_f32_e32 v98, 0xbf29c268, v28
	v_add_f32_e32 v31, v31, v44
	v_fma_f32 v12, 0x3f62ad3f, v11, -v106
	v_add_f32_e32 v36, v37, v105
	v_fmac_f32_e32 v104, 0x3eedf032, v28
	v_add_f32_e32 v33, v6, v33
	v_fma_f32 v11, 0xbf788fa5, v11, -v51
	v_add_f32_e32 v35, v5, v62
	v_fmac_f32_e32 v49, 0xbe750f2a, v28
	v_add3_u32 v13, 0, v13, v32
	v_add_f32_e32 v26, v26, v71
	v_add_f32_e32 v42, v42, v98
	;; [unrolled: 1-line block ×6, first 2 shown]
	ds_write2_b64 v13, v[9:10], v[22:23] offset1:1
	ds_write2_b64 v13, v[20:21], v[18:19] offset0:2 offset1:3
	ds_write2_b64 v13, v[16:17], v[14:15] offset0:4 offset1:5
	;; [unrolled: 1-line block ×5, first 2 shown]
	ds_write_b64 v13, v[11:12] offset:96
.LBB0_14:
	s_or_b32 exec_lo, exec_lo, s1
	s_waitcnt vmcnt(0) lgkmcnt(0)
	s_barrier
	buffer_gl0_inv
	s_and_saveexec_b32 s0, vcc_lo
	s_cbranch_execz .LBB0_16
; %bb.15:
	v_mul_u32_u24_e32 v5, 10, v0
	v_lshlrev_b32_e32 v0, 3, v0
	v_mul_lo_u32 v8, s5, v3
	v_mul_lo_u32 v9, s4, v4
	v_mad_u64_u32 v[6:7], null, s4, v3, 0
	v_lshlrev_b32_e32 v5, 3, v5
	v_add3_u32 v47, 0, v0, v32
	v_add3_u32 v39, 0, v32, v0
	v_add_nc_u32_e32 v33, 13, v34
	s_clause 0x4
	global_load_dwordx4 v[13:16], v5, s[12:13] offset:64
	global_load_dwordx4 v[17:20], v5, s[12:13]
	global_load_dwordx4 v[21:24], v5, s[12:13] offset:48
	global_load_dwordx4 v[25:28], v5, s[12:13] offset:16
	;; [unrolled: 1-line block ×3, first 2 shown]
	v_mad_u64_u32 v[4:5], null, s2, v34, 0
	v_add3_u32 v7, v7, v9, v8
	ds_read2_b64 v[29:32], v47 offset0:117 offset1:130
	v_lshlrev_b64 v[2:3], 3, v[1:2]
	v_mad_u64_u32 v[0:1], null, s2, v33, 0
	v_add_nc_u32_e32 v124, 39, v34
	v_mad_u64_u32 v[8:9], null, s3, v34, v[5:6]
	ds_read2_b64 v[9:12], v47 offset0:13 offset1:26
	ds_read_b64 v[51:52], v39
	ds_read2_b64 v[39:42], v47 offset0:91 offset1:104
	ds_read2_b64 v[43:46], v47 offset0:39 offset1:52
	;; [unrolled: 1-line block ×3, first 2 shown]
	v_lshlrev_b64 v[6:7], 3, v[6:7]
	v_mov_b32_e32 v5, v8
	v_add_co_u32 v8, vcc_lo, s10, v6
	v_add_co_ci_u32_e32 v53, vcc_lo, s11, v7, vcc_lo
	v_lshlrev_b64 v[6:7], 3, v[4:5]
	v_add_co_u32 v4, vcc_lo, v8, v2
	v_add_co_ci_u32_e32 v5, vcc_lo, v53, v3, vcc_lo
	v_mad_u64_u32 v[1:2], null, s3, v33, v[1:2]
	v_add_co_u32 v2, vcc_lo, v4, v6
	v_add_co_ci_u32_e32 v3, vcc_lo, v5, v7, vcc_lo
	v_lshlrev_b64 v[0:1], 3, v[0:1]
	v_add_co_u32 v0, vcc_lo, v4, v0
	v_add_co_ci_u32_e32 v1, vcc_lo, v5, v1, vcc_lo
	s_waitcnt vmcnt(4) lgkmcnt(5)
	v_mul_f32_e32 v6, v15, v32
	s_waitcnt vmcnt(3) lgkmcnt(4)
	v_mul_f32_e32 v33, v17, v10
	v_mul_f32_e32 v10, v18, v10
	;; [unrolled: 1-line block ×3, first 2 shown]
	s_waitcnt vmcnt(2) lgkmcnt(2)
	v_mul_f32_e32 v8, v23, v42
	s_waitcnt vmcnt(1) lgkmcnt(1)
	v_mul_f32_e32 v55, v25, v44
	v_mul_f32_e32 v7, v13, v30
	;; [unrolled: 1-line block ×11, first 2 shown]
	s_waitcnt vmcnt(0) lgkmcnt(0)
	v_mul_f32_e32 v57, v37, v50
	v_mul_f32_e32 v58, v35, v48
	;; [unrolled: 1-line block ×4, first 2 shown]
	v_fmac_f32_e32 v6, v16, v31
	v_fmac_f32_e32 v33, v18, v9
	v_fma_f32 v16, v17, v9, -v10
	v_fma_f32 v9, v31, v15, -v32
	v_fmac_f32_e32 v8, v24, v41
	v_fmac_f32_e32 v55, v26, v43
	;; [unrolled: 1-line block ×4, first 2 shown]
	v_fma_f32 v14, v19, v11, -v54
	v_fma_f32 v10, v29, v13, -v30
	v_fma_f32 v15, v25, v43, -v44
	v_fma_f32 v11, v41, v23, -v42
	v_fmac_f32_e32 v12, v22, v39
	v_fmac_f32_e32 v56, v28, v45
	v_fma_f32 v17, v27, v45, -v46
	v_fma_f32 v13, v39, v21, -v40
	v_fmac_f32_e32 v57, v38, v49
	v_fmac_f32_e32 v58, v36, v47
	v_fma_f32 v18, v35, v47, -v48
	v_fma_f32 v19, v49, v37, -v50
	v_add_f32_e32 v20, v6, v33
	v_sub_f32_e32 v21, v16, v9
	v_add_f32_e32 v24, v8, v55
	v_add_f32_e32 v30, v9, v16
	v_sub_f32_e32 v31, v33, v6
	v_add_f32_e32 v33, v33, v52
	v_add_f32_e32 v16, v16, v51
	;; [unrolled: 1-line block ×3, first 2 shown]
	v_sub_f32_e32 v23, v14, v10
	v_sub_f32_e32 v25, v15, v11
	v_add_f32_e32 v26, v12, v56
	v_sub_f32_e32 v27, v17, v13
	v_add_f32_e32 v28, v57, v58
	v_sub_f32_e32 v29, v18, v19
	v_add_f32_e32 v32, v10, v14
	v_sub_f32_e32 v35, v53, v7
	v_sub_f32_e32 v37, v55, v8
	;; [unrolled: 1-line block ×4, first 2 shown]
	v_mul_f32_e32 v42, 0xbf75a155, v20
	v_mul_f32_e32 v44, 0xbf27a4f4, v24
	;; [unrolled: 1-line block ×11, first 2 shown]
	v_add_f32_e32 v33, v33, v53
	v_add_f32_e32 v14, v16, v14
	;; [unrolled: 1-line block ×5, first 2 shown]
	v_mul_f32_e32 v43, 0x3f575c64, v22
	v_mul_f32_e32 v45, 0x3ed4b147, v26
	;; [unrolled: 1-line block ×39, first 2 shown]
	v_fmamk_f32 v92, v21, 0x3e903f40, v42
	v_fmamk_f32 v94, v25, 0x3f4178ce, v44
	;; [unrolled: 1-line block ×3, first 2 shown]
	v_fmac_f32_e32 v42, 0xbe903f40, v21
	v_fmac_f32_e32 v44, 0xbf4178ce, v25
	v_fma_f32 v21, 0xbf75a155, v30, -v47
	v_fmamk_f32 v25, v20, 0xbf27a4f4, v50
	v_fma_f32 v99, 0xbf27a4f4, v30, -v62
	v_fmamk_f32 v101, v20, 0xbe11bafb, v65
	v_fma_f32 v106, 0xbe11bafb, v30, -v70
	v_fmamk_f32 v108, v20, 0x3ed4b147, v73
	v_fma_f32 v110, 0x3ed4b147, v30, -v78
	v_fmamk_f32 v111, v20, 0x3f575c64, v80
	v_fma_f32 v50, 0xbf27a4f4, v20, -v50
	v_fma_f32 v65, 0xbe11bafb, v20, -v65
	;; [unrolled: 1-line block ×5, first 2 shown]
	v_fmac_f32_e32 v62, 0xbf27a4f4, v30
	v_fmac_f32_e32 v70, 0xbe11bafb, v30
	;; [unrolled: 1-line block ×4, first 2 shown]
	v_add_f32_e32 v33, v33, v55
	v_add_f32_e32 v14, v14, v15
	v_fmamk_f32 v93, v23, 0xbf0a6770, v43
	v_fmamk_f32 v95, v27, 0xbf68dda4, v45
	;; [unrolled: 1-line block ×4, first 2 shown]
	v_fmac_f32_e32 v43, 0x3f0a6770, v23
	v_fmac_f32_e32 v45, 0x3f68dda4, v27
	;; [unrolled: 1-line block ×3, first 2 shown]
	v_fma_f32 v23, 0x3f575c64, v32, -v48
	v_fmamk_f32 v27, v22, 0xbe11bafb, v54
	v_fmamk_f32 v29, v24, 0x3f575c64, v59
	v_fmamk_f32 v47, v26, 0xbf75a155, v60
	v_fmamk_f32 v48, v28, 0x3ed4b147, v61
	v_fma_f32 v100, 0xbe11bafb, v32, -v63
	v_fmamk_f32 v102, v22, 0xbf75a155, v66
	v_fmamk_f32 v103, v24, 0x3ed4b147, v67
	v_fmamk_f32 v104, v26, 0x3f575c64, v68
	v_fmamk_f32 v105, v28, 0xbf27a4f4, v69
	;; [unrolled: 5-line block ×3, first 2 shown]
	v_fma_f32 v55, 0xbf27a4f4, v32, -v79
	v_fmamk_f32 v114, v22, 0x3ed4b147, v81
	v_fma_f32 v54, 0xbe11bafb, v22, -v54
	v_fma_f32 v66, 0xbf75a155, v22, -v66
	v_fma_f32 v74, 0xbf27a4f4, v22, -v74
	v_fma_f32 v22, 0x3ed4b147, v22, -v81
	v_fmamk_f32 v81, v24, 0xbe11bafb, v82
	v_fma_f32 v59, 0x3f575c64, v24, -v59
	v_fma_f32 v67, 0x3ed4b147, v24, -v67
	v_fma_f32 v75, 0xbf75a155, v24, -v75
	;; [unrolled: 5-line block ×4, first 2 shown]
	v_fma_f32 v84, 0xbf75a155, v28, -v84
	v_fma_f32 v28, 0x3ed4b147, v32, -v35
	v_fmac_f32_e32 v63, 0xbe11bafb, v32
	v_fmac_f32_e32 v71, 0xbf75a155, v32
	v_fmac_f32_e32 v79, 0xbf27a4f4, v32
	v_fmac_f32_e32 v35, 0x3ed4b147, v32
	v_fmamk_f32 v32, v36, 0xbf27a4f4, v49
	v_fma_f32 v49, 0xbf27a4f4, v36, -v49
	v_fma_f32 v115, 0x3f575c64, v36, -v64
	v_fmac_f32_e32 v64, 0x3f575c64, v36
	v_fma_f32 v116, 0x3ed4b147, v36, -v72
	v_fmac_f32_e32 v72, 0x3ed4b147, v36
	;; [unrolled: 2-line block ×4, first 2 shown]
	v_fmamk_f32 v36, v39, 0x3ed4b147, v16
	v_fma_f32 v119, 0x3ed4b147, v39, -v16
	v_fma_f32 v120, 0xbf75a155, v39, -v85
	v_fmac_f32_e32 v85, 0xbf75a155, v39
	v_fma_f32 v121, 0x3f575c64, v39, -v86
	v_fmac_f32_e32 v86, 0x3f575c64, v39
	;; [unrolled: 2-line block ×4, first 2 shown]
	v_fmamk_f32 v39, v41, 0xbe11bafb, v88
	v_fma_f32 v88, 0xbe11bafb, v41, -v88
	v_add_f32_e32 v15, v92, v52
	v_add_f32_e32 v16, v97, v51
	;; [unrolled: 1-line block ×20, first 2 shown]
	v_fma_f32 v51, 0x3ed4b147, v41, -v89
	v_fmac_f32_e32 v89, 0x3ed4b147, v41
	v_fma_f32 v52, 0xbf27a4f4, v41, -v90
	v_fmac_f32_e32 v90, 0xbf27a4f4, v41
	;; [unrolled: 2-line block ×4, first 2 shown]
	v_add_f32_e32 v33, v33, v56
	v_add_f32_e32 v41, v14, v17
	;; [unrolled: 1-line block ×18, first 2 shown]
	v_add_nc_u32_e32 v56, 26, v34
	v_add_f32_e32 v41, v50, v54
	v_add_f32_e32 v50, v62, v63
	;; [unrolled: 1-line block ×15, first 2 shown]
	v_mad_u64_u32 v[14:15], null, s2, v56, 0
	v_mad_u64_u32 v[16:17], null, s2, v124, 0
	v_add_f32_e32 v19, v41, v59
	v_add_f32_e32 v49, v54, v67
	;; [unrolled: 1-line block ×14, first 2 shown]
	v_add_nc_u32_e32 v43, 52, v34
	v_add_f32_e32 v42, v19, v60
	v_add_f32_e32 v44, v49, v68
	v_add_f32_e32 v49, v53, v87
	v_add_f32_e32 v19, v32, v46
	v_add_f32_e32 v32, v7, v8
	v_add_f32_e32 v11, v10, v11
	v_add_f32_e32 v13, v24, v96
	v_add_f32_e32 v18, v21, v88
	v_add_f32_e32 v21, v23, v48
	v_add_f32_e32 v23, v27, v105
	v_add_f32_e32 v24, v35, v110
	v_add_f32_e32 v27, v36, v83
	v_mad_u64_u32 v[35:36], null, s3, v56, v[15:16]
	v_mad_u64_u32 v[36:37], null, s2, v43, 0
	v_add_f32_e32 v7, v49, v91
	v_add_f32_e32 v33, v6, v32
	;; [unrolled: 1-line block ×3, first 2 shown]
	v_mov_b32_e32 v6, v17
	v_add_f32_e32 v97, v101, v109
	v_add_f32_e32 v28, v80, v28
	v_mov_b32_e32 v15, v35
	global_store_dwordx2 v[2:3], v[32:33], off
	v_mad_u64_u32 v[2:3], null, s3, v124, v[6:7]
	v_mov_b32_e32 v3, v37
	v_add_f32_e32 v58, v70, v71
	v_add_f32_e32 v25, v25, v115
	;; [unrolled: 1-line block ×4, first 2 shown]
	v_lshlrev_b64 v[14:15], 3, v[14:15]
	v_mad_u64_u32 v[32:33], null, s3, v43, v[3:4]
	v_add_f32_e32 v38, v22, v38
	v_add_nc_u32_e32 v6, 0x41, v34
	v_mov_b32_e32 v17, v2
	v_add_f32_e32 v41, v50, v64
	v_add_f32_e32 v50, v58, v72
	v_add_f32_e32 v25, v25, v120
	v_add_f32_e32 v30, v30, v112
	v_add_f32_e32 v28, v28, v123
	v_add_f32_e32 v29, v92, v116
	v_add_co_u32 v2, vcc_lo, v4, v14
	v_add_f32_e32 v12, v31, v39
	v_add_f32_e32 v9, v38, v40
	v_mad_u64_u32 v[38:39], null, s2, v6, 0
	v_add_co_ci_u32_e32 v3, vcc_lo, v5, v15, vcc_lo
	v_lshlrev_b64 v[14:15], 3, v[16:17]
	v_add_f32_e32 v45, v50, v86
	v_add_f32_e32 v50, v20, v26
	;; [unrolled: 1-line block ×5, first 2 shown]
	v_mov_b32_e32 v37, v32
	v_add_f32_e32 v29, v29, v121
	v_add_co_u32 v14, vcc_lo, v4, v14
	global_store_dwordx2 v[0:1], v[26:27], off
	global_store_dwordx2 v[2:3], v[24:25], off
	v_lshlrev_b64 v[1:2], 3, v[36:37]
	v_add_f32_e32 v22, v29, v52
	v_mov_b32_e32 v0, v39
	v_add_co_ci_u32_e32 v15, vcc_lo, v5, v15, vcc_lo
	v_add_nc_u32_e32 v11, 0x4e, v34
	v_add_nc_u32_e32 v24, 0x68, v34
	v_mad_u64_u32 v[16:17], null, s3, v6, v[0:1]
	global_store_dwordx2 v[14:15], v[22:23], off
	v_add_nc_u32_e32 v22, 0x5b, v34
	v_add_co_u32 v0, vcc_lo, v4, v1
	v_add_co_ci_u32_e32 v1, vcc_lo, v5, v2, vcc_lo
	v_mad_u64_u32 v[2:3], null, s2, v11, 0
	v_mad_u64_u32 v[14:15], null, s2, v22, 0
	v_mov_b32_e32 v39, v16
	v_mad_u64_u32 v[16:17], null, s2, v24, 0
	global_store_dwordx2 v[0:1], v[20:21], off
	v_mad_u64_u32 v[20:21], null, s3, v11, v[3:4]
	v_lshlrev_b64 v[0:1], 3, v[38:39]
	v_mov_b32_e32 v6, v15
	v_add_nc_u32_e32 v11, 0x75, v34
	v_mov_b32_e32 v3, v17
	v_add_f32_e32 v62, v73, v74
	v_add_f32_e32 v41, v41, v85
	v_mad_u64_u32 v[21:22], null, s3, v22, v[6:7]
	v_add_co_u32 v0, vcc_lo, v4, v0
	v_mad_u64_u32 v[22:23], null, s2, v11, 0
	v_add_nc_u32_e32 v6, 0x82, v34
	v_add_co_ci_u32_e32 v1, vcc_lo, v5, v1, vcc_lo
	v_mad_u64_u32 v[24:25], null, s3, v24, v[3:4]
	v_mov_b32_e32 v3, v20
	v_mad_u64_u32 v[25:26], null, s2, v6, 0
	global_store_dwordx2 v[0:1], v[18:19], off
	v_mov_b32_e32 v0, v23
	v_lshlrev_b64 v[1:2], 3, v[2:3]
	v_mov_b32_e32 v15, v21
	v_mov_b32_e32 v17, v24
	v_add_f32_e32 v54, v62, v75
	v_add_f32_e32 v29, v42, v61
	v_add_f32_e32 v28, v41, v89
	v_mad_u64_u32 v[18:19], null, s3, v11, v[0:1]
	v_mov_b32_e32 v0, v26
	v_add_co_u32 v1, vcc_lo, v4, v1
	v_lshlrev_b64 v[14:15], 3, v[14:15]
	v_lshlrev_b64 v[16:17], 3, v[16:17]
	v_add_co_ci_u32_e32 v2, vcc_lo, v5, v2, vcc_lo
	v_mad_u64_u32 v[19:20], null, s3, v6, v[0:1]
	v_mov_b32_e32 v23, v18
	v_add_co_u32 v14, vcc_lo, v4, v14
	v_add_co_ci_u32_e32 v15, vcc_lo, v5, v15, vcc_lo
	v_lshlrev_b64 v[20:21], 3, v[22:23]
	v_mov_b32_e32 v26, v19
	v_add_co_u32 v16, vcc_lo, v4, v16
	v_add_f32_e32 v47, v54, v76
	v_add_co_ci_u32_e32 v17, vcc_lo, v5, v17, vcc_lo
	v_lshlrev_b64 v[18:19], 3, v[25:26]
	v_add_co_u32 v20, vcc_lo, v4, v20
	v_add_co_ci_u32_e32 v21, vcc_lo, v5, v21, vcc_lo
	v_add_f32_e32 v31, v44, v69
	v_add_f32_e32 v30, v45, v90
	v_add_co_u32 v3, vcc_lo, v4, v18
	v_add_f32_e32 v8, v47, v77
	v_add_f32_e32 v10, v50, v84
	v_add_co_ci_u32_e32 v4, vcc_lo, v5, v19, vcc_lo
	global_store_dwordx2 v[1:2], v[12:13], off
	global_store_dwordx2 v[14:15], v[28:29], off
	global_store_dwordx2 v[16:17], v[30:31], off
	global_store_dwordx2 v[20:21], v[7:8], off
	global_store_dwordx2 v[3:4], v[9:10], off
.LBB0_16:
	s_endpgm
	.section	.rodata,"a",@progbits
	.p2align	6, 0x0
	.amdhsa_kernel fft_rtc_fwd_len143_factors_13_11_wgs_182_tpt_13_sp_op_CI_CI_sbrr_dirReg
		.amdhsa_group_segment_fixed_size 0
		.amdhsa_private_segment_fixed_size 0
		.amdhsa_kernarg_size 104
		.amdhsa_user_sgpr_count 6
		.amdhsa_user_sgpr_private_segment_buffer 1
		.amdhsa_user_sgpr_dispatch_ptr 0
		.amdhsa_user_sgpr_queue_ptr 0
		.amdhsa_user_sgpr_kernarg_segment_ptr 1
		.amdhsa_user_sgpr_dispatch_id 0
		.amdhsa_user_sgpr_flat_scratch_init 0
		.amdhsa_user_sgpr_private_segment_size 0
		.amdhsa_wavefront_size32 1
		.amdhsa_uses_dynamic_stack 0
		.amdhsa_system_sgpr_private_segment_wavefront_offset 0
		.amdhsa_system_sgpr_workgroup_id_x 1
		.amdhsa_system_sgpr_workgroup_id_y 0
		.amdhsa_system_sgpr_workgroup_id_z 0
		.amdhsa_system_sgpr_workgroup_info 0
		.amdhsa_system_vgpr_workitem_id 0
		.amdhsa_next_free_vgpr 125
		.amdhsa_next_free_sgpr 31
		.amdhsa_reserve_vcc 1
		.amdhsa_reserve_flat_scratch 0
		.amdhsa_float_round_mode_32 0
		.amdhsa_float_round_mode_16_64 0
		.amdhsa_float_denorm_mode_32 3
		.amdhsa_float_denorm_mode_16_64 3
		.amdhsa_dx10_clamp 1
		.amdhsa_ieee_mode 1
		.amdhsa_fp16_overflow 0
		.amdhsa_workgroup_processor_mode 1
		.amdhsa_memory_ordered 1
		.amdhsa_forward_progress 0
		.amdhsa_shared_vgpr_count 0
		.amdhsa_exception_fp_ieee_invalid_op 0
		.amdhsa_exception_fp_denorm_src 0
		.amdhsa_exception_fp_ieee_div_zero 0
		.amdhsa_exception_fp_ieee_overflow 0
		.amdhsa_exception_fp_ieee_underflow 0
		.amdhsa_exception_fp_ieee_inexact 0
		.amdhsa_exception_int_div_zero 0
	.end_amdhsa_kernel
	.text
.Lfunc_end0:
	.size	fft_rtc_fwd_len143_factors_13_11_wgs_182_tpt_13_sp_op_CI_CI_sbrr_dirReg, .Lfunc_end0-fft_rtc_fwd_len143_factors_13_11_wgs_182_tpt_13_sp_op_CI_CI_sbrr_dirReg
                                        ; -- End function
	.section	.AMDGPU.csdata,"",@progbits
; Kernel info:
; codeLenInByte = 7904
; NumSgprs: 33
; NumVgprs: 125
; ScratchSize: 0
; MemoryBound: 0
; FloatMode: 240
; IeeeMode: 1
; LDSByteSize: 0 bytes/workgroup (compile time only)
; SGPRBlocks: 4
; VGPRBlocks: 15
; NumSGPRsForWavesPerEU: 33
; NumVGPRsForWavesPerEU: 125
; Occupancy: 8
; WaveLimiterHint : 1
; COMPUTE_PGM_RSRC2:SCRATCH_EN: 0
; COMPUTE_PGM_RSRC2:USER_SGPR: 6
; COMPUTE_PGM_RSRC2:TRAP_HANDLER: 0
; COMPUTE_PGM_RSRC2:TGID_X_EN: 1
; COMPUTE_PGM_RSRC2:TGID_Y_EN: 0
; COMPUTE_PGM_RSRC2:TGID_Z_EN: 0
; COMPUTE_PGM_RSRC2:TIDIG_COMP_CNT: 0
	.text
	.p2alignl 6, 3214868480
	.fill 48, 4, 3214868480
	.type	__hip_cuid_9c54994ee768ef8a,@object ; @__hip_cuid_9c54994ee768ef8a
	.section	.bss,"aw",@nobits
	.globl	__hip_cuid_9c54994ee768ef8a
__hip_cuid_9c54994ee768ef8a:
	.byte	0                               ; 0x0
	.size	__hip_cuid_9c54994ee768ef8a, 1

	.ident	"AMD clang version 19.0.0git (https://github.com/RadeonOpenCompute/llvm-project roc-6.4.0 25133 c7fe45cf4b819c5991fe208aaa96edf142730f1d)"
	.section	".note.GNU-stack","",@progbits
	.addrsig
	.addrsig_sym __hip_cuid_9c54994ee768ef8a
	.amdgpu_metadata
---
amdhsa.kernels:
  - .args:
      - .actual_access:  read_only
        .address_space:  global
        .offset:         0
        .size:           8
        .value_kind:     global_buffer
      - .offset:         8
        .size:           8
        .value_kind:     by_value
      - .actual_access:  read_only
        .address_space:  global
        .offset:         16
        .size:           8
        .value_kind:     global_buffer
      - .actual_access:  read_only
        .address_space:  global
        .offset:         24
        .size:           8
        .value_kind:     global_buffer
      - .actual_access:  read_only
        .address_space:  global
        .offset:         32
        .size:           8
        .value_kind:     global_buffer
      - .offset:         40
        .size:           8
        .value_kind:     by_value
      - .actual_access:  read_only
        .address_space:  global
        .offset:         48
        .size:           8
        .value_kind:     global_buffer
      - .actual_access:  read_only
        .address_space:  global
        .offset:         56
        .size:           8
        .value_kind:     global_buffer
      - .offset:         64
        .size:           4
        .value_kind:     by_value
      - .actual_access:  read_only
        .address_space:  global
        .offset:         72
        .size:           8
        .value_kind:     global_buffer
      - .actual_access:  read_only
        .address_space:  global
        .offset:         80
        .size:           8
        .value_kind:     global_buffer
      - .actual_access:  read_only
        .address_space:  global
        .offset:         88
        .size:           8
        .value_kind:     global_buffer
      - .actual_access:  write_only
        .address_space:  global
        .offset:         96
        .size:           8
        .value_kind:     global_buffer
    .group_segment_fixed_size: 0
    .kernarg_segment_align: 8
    .kernarg_segment_size: 104
    .language:       OpenCL C
    .language_version:
      - 2
      - 0
    .max_flat_workgroup_size: 182
    .name:           fft_rtc_fwd_len143_factors_13_11_wgs_182_tpt_13_sp_op_CI_CI_sbrr_dirReg
    .private_segment_fixed_size: 0
    .sgpr_count:     33
    .sgpr_spill_count: 0
    .symbol:         fft_rtc_fwd_len143_factors_13_11_wgs_182_tpt_13_sp_op_CI_CI_sbrr_dirReg.kd
    .uniform_work_group_size: 1
    .uses_dynamic_stack: false
    .vgpr_count:     125
    .vgpr_spill_count: 0
    .wavefront_size: 32
    .workgroup_processor_mode: 1
amdhsa.target:   amdgcn-amd-amdhsa--gfx1030
amdhsa.version:
  - 1
  - 2
...

	.end_amdgpu_metadata
